;; amdgpu-corpus repo=ROCm/rocFFT kind=compiled arch=gfx906 opt=O3
	.text
	.amdgcn_target "amdgcn-amd-amdhsa--gfx906"
	.amdhsa_code_object_version 6
	.protected	fft_rtc_back_len630_factors_3_3_5_7_2_wgs_63_tpt_63_halfLds_half_op_CI_CI_unitstride_sbrr_C2R_dirReg ; -- Begin function fft_rtc_back_len630_factors_3_3_5_7_2_wgs_63_tpt_63_halfLds_half_op_CI_CI_unitstride_sbrr_C2R_dirReg
	.globl	fft_rtc_back_len630_factors_3_3_5_7_2_wgs_63_tpt_63_halfLds_half_op_CI_CI_unitstride_sbrr_C2R_dirReg
	.p2align	8
	.type	fft_rtc_back_len630_factors_3_3_5_7_2_wgs_63_tpt_63_halfLds_half_op_CI_CI_unitstride_sbrr_C2R_dirReg,@function
fft_rtc_back_len630_factors_3_3_5_7_2_wgs_63_tpt_63_halfLds_half_op_CI_CI_unitstride_sbrr_C2R_dirReg: ; @fft_rtc_back_len630_factors_3_3_5_7_2_wgs_63_tpt_63_halfLds_half_op_CI_CI_unitstride_sbrr_C2R_dirReg
; %bb.0:
	s_load_dwordx4 s[8:11], s[4:5], 0x58
	s_load_dwordx4 s[12:15], s[4:5], 0x0
	;; [unrolled: 1-line block ×3, first 2 shown]
	v_mul_u32_u24_e32 v1, 0x411, v0
	v_mov_b32_e32 v8, 0
	v_mov_b32_e32 v6, 0
	s_waitcnt lgkmcnt(0)
	v_cmp_lt_u64_e64 s[0:1], s[14:15], 2
	v_add_u32_sdwa v10, s6, v1 dst_sel:DWORD dst_unused:UNUSED_PAD src0_sel:DWORD src1_sel:WORD_1
	v_mov_b32_e32 v11, v8
	s_and_b64 vcc, exec, s[0:1]
	v_mov_b32_e32 v7, 0
	s_cbranch_vccnz .LBB0_8
; %bb.1:
	s_load_dwordx2 s[0:1], s[4:5], 0x10
	s_add_u32 s2, s18, 8
	s_addc_u32 s3, s19, 0
	s_add_u32 s6, s16, 8
	s_addc_u32 s7, s17, 0
	v_mov_b32_e32 v6, 0
	s_waitcnt lgkmcnt(0)
	s_add_u32 s20, s0, 8
	v_mov_b32_e32 v7, 0
	v_mov_b32_e32 v1, v6
	s_addc_u32 s21, s1, 0
	s_mov_b64 s[22:23], 1
	v_mov_b32_e32 v2, v7
.LBB0_2:                                ; =>This Inner Loop Header: Depth=1
	s_load_dwordx2 s[24:25], s[20:21], 0x0
                                        ; implicit-def: $vgpr3_vgpr4
	s_waitcnt lgkmcnt(0)
	v_or_b32_e32 v9, s25, v11
	v_cmp_ne_u64_e32 vcc, 0, v[8:9]
	s_and_saveexec_b64 s[0:1], vcc
	s_xor_b64 s[26:27], exec, s[0:1]
	s_cbranch_execz .LBB0_4
; %bb.3:                                ;   in Loop: Header=BB0_2 Depth=1
	v_cvt_f32_u32_e32 v3, s24
	v_cvt_f32_u32_e32 v4, s25
	s_sub_u32 s0, 0, s24
	s_subb_u32 s1, 0, s25
	v_mac_f32_e32 v3, 0x4f800000, v4
	v_rcp_f32_e32 v3, v3
	v_mul_f32_e32 v3, 0x5f7ffffc, v3
	v_mul_f32_e32 v4, 0x2f800000, v3
	v_trunc_f32_e32 v4, v4
	v_mac_f32_e32 v3, 0xcf800000, v4
	v_cvt_u32_f32_e32 v4, v4
	v_cvt_u32_f32_e32 v3, v3
	v_mul_lo_u32 v5, s0, v4
	v_mul_hi_u32 v9, s0, v3
	v_mul_lo_u32 v13, s1, v3
	v_mul_lo_u32 v12, s0, v3
	v_add_u32_e32 v5, v9, v5
	v_add_u32_e32 v5, v5, v13
	v_mul_hi_u32 v9, v3, v12
	v_mul_lo_u32 v13, v3, v5
	v_mul_hi_u32 v15, v3, v5
	v_mul_hi_u32 v14, v4, v12
	v_mul_lo_u32 v12, v4, v12
	v_mul_hi_u32 v16, v4, v5
	v_add_co_u32_e32 v9, vcc, v9, v13
	v_addc_co_u32_e32 v13, vcc, 0, v15, vcc
	v_mul_lo_u32 v5, v4, v5
	v_add_co_u32_e32 v9, vcc, v9, v12
	v_addc_co_u32_e32 v9, vcc, v13, v14, vcc
	v_addc_co_u32_e32 v12, vcc, 0, v16, vcc
	v_add_co_u32_e32 v5, vcc, v9, v5
	v_addc_co_u32_e32 v9, vcc, 0, v12, vcc
	v_add_co_u32_e32 v3, vcc, v3, v5
	v_addc_co_u32_e32 v4, vcc, v4, v9, vcc
	v_mul_lo_u32 v5, s0, v4
	v_mul_hi_u32 v9, s0, v3
	v_mul_lo_u32 v12, s1, v3
	v_mul_lo_u32 v13, s0, v3
	v_add_u32_e32 v5, v9, v5
	v_add_u32_e32 v5, v5, v12
	v_mul_lo_u32 v14, v3, v5
	v_mul_hi_u32 v15, v3, v13
	v_mul_hi_u32 v16, v3, v5
	v_mul_hi_u32 v12, v4, v13
	v_mul_lo_u32 v13, v4, v13
	v_mul_hi_u32 v9, v4, v5
	v_add_co_u32_e32 v14, vcc, v15, v14
	v_addc_co_u32_e32 v15, vcc, 0, v16, vcc
	v_mul_lo_u32 v5, v4, v5
	v_add_co_u32_e32 v13, vcc, v14, v13
	v_addc_co_u32_e32 v12, vcc, v15, v12, vcc
	v_addc_co_u32_e32 v9, vcc, 0, v9, vcc
	v_add_co_u32_e32 v5, vcc, v12, v5
	v_addc_co_u32_e32 v9, vcc, 0, v9, vcc
	v_add_co_u32_e32 v5, vcc, v3, v5
	v_addc_co_u32_e32 v9, vcc, v4, v9, vcc
	v_mad_u64_u32 v[3:4], s[0:1], v10, v9, 0
	v_mul_hi_u32 v12, v10, v5
	v_add_co_u32_e32 v14, vcc, v12, v3
	v_addc_co_u32_e32 v15, vcc, 0, v4, vcc
	v_mad_u64_u32 v[3:4], s[0:1], v11, v5, 0
	v_mad_u64_u32 v[12:13], s[0:1], v11, v9, 0
	v_add_co_u32_e32 v3, vcc, v14, v3
	v_addc_co_u32_e32 v3, vcc, v15, v4, vcc
	v_addc_co_u32_e32 v4, vcc, 0, v13, vcc
	v_add_co_u32_e32 v5, vcc, v3, v12
	v_addc_co_u32_e32 v9, vcc, 0, v4, vcc
	v_mul_lo_u32 v12, s25, v5
	v_mul_lo_u32 v13, s24, v9
	v_mad_u64_u32 v[3:4], s[0:1], s24, v5, 0
	v_add3_u32 v4, v4, v13, v12
	v_sub_u32_e32 v12, v11, v4
	v_mov_b32_e32 v13, s25
	v_sub_co_u32_e32 v3, vcc, v10, v3
	v_subb_co_u32_e64 v12, s[0:1], v12, v13, vcc
	v_subrev_co_u32_e64 v13, s[0:1], s24, v3
	v_subbrev_co_u32_e64 v12, s[0:1], 0, v12, s[0:1]
	v_cmp_le_u32_e64 s[0:1], s25, v12
	v_cndmask_b32_e64 v14, 0, -1, s[0:1]
	v_cmp_le_u32_e64 s[0:1], s24, v13
	v_cndmask_b32_e64 v13, 0, -1, s[0:1]
	v_cmp_eq_u32_e64 s[0:1], s25, v12
	v_cndmask_b32_e64 v12, v14, v13, s[0:1]
	v_add_co_u32_e64 v13, s[0:1], 2, v5
	v_addc_co_u32_e64 v14, s[0:1], 0, v9, s[0:1]
	v_add_co_u32_e64 v15, s[0:1], 1, v5
	v_addc_co_u32_e64 v16, s[0:1], 0, v9, s[0:1]
	v_subb_co_u32_e32 v4, vcc, v11, v4, vcc
	v_cmp_ne_u32_e64 s[0:1], 0, v12
	v_cmp_le_u32_e32 vcc, s25, v4
	v_cndmask_b32_e64 v12, v16, v14, s[0:1]
	v_cndmask_b32_e64 v14, 0, -1, vcc
	v_cmp_le_u32_e32 vcc, s24, v3
	v_cndmask_b32_e64 v3, 0, -1, vcc
	v_cmp_eq_u32_e32 vcc, s25, v4
	v_cndmask_b32_e32 v3, v14, v3, vcc
	v_cmp_ne_u32_e32 vcc, 0, v3
	v_cndmask_b32_e64 v3, v15, v13, s[0:1]
	v_cndmask_b32_e32 v4, v9, v12, vcc
	v_cndmask_b32_e32 v3, v5, v3, vcc
.LBB0_4:                                ;   in Loop: Header=BB0_2 Depth=1
	s_andn2_saveexec_b64 s[0:1], s[26:27]
	s_cbranch_execz .LBB0_6
; %bb.5:                                ;   in Loop: Header=BB0_2 Depth=1
	v_cvt_f32_u32_e32 v3, s24
	s_sub_i32 s26, 0, s24
	v_rcp_iflag_f32_e32 v3, v3
	v_mul_f32_e32 v3, 0x4f7ffffe, v3
	v_cvt_u32_f32_e32 v3, v3
	v_mul_lo_u32 v4, s26, v3
	v_mul_hi_u32 v4, v3, v4
	v_add_u32_e32 v3, v3, v4
	v_mul_hi_u32 v3, v10, v3
	v_mul_lo_u32 v4, v3, s24
	v_add_u32_e32 v5, 1, v3
	v_sub_u32_e32 v4, v10, v4
	v_subrev_u32_e32 v9, s24, v4
	v_cmp_le_u32_e32 vcc, s24, v4
	v_cndmask_b32_e32 v4, v4, v9, vcc
	v_cndmask_b32_e32 v3, v3, v5, vcc
	v_add_u32_e32 v5, 1, v3
	v_cmp_le_u32_e32 vcc, s24, v4
	v_cndmask_b32_e32 v3, v3, v5, vcc
	v_mov_b32_e32 v4, v8
.LBB0_6:                                ;   in Loop: Header=BB0_2 Depth=1
	s_or_b64 exec, exec, s[0:1]
	v_mul_lo_u32 v5, v4, s24
	v_mul_lo_u32 v9, v3, s25
	v_mad_u64_u32 v[12:13], s[0:1], v3, s24, 0
	s_load_dwordx2 s[0:1], s[6:7], 0x0
	s_load_dwordx2 s[24:25], s[2:3], 0x0
	v_add3_u32 v5, v13, v9, v5
	v_sub_co_u32_e32 v9, vcc, v10, v12
	v_subb_co_u32_e32 v5, vcc, v11, v5, vcc
	s_waitcnt lgkmcnt(0)
	v_mul_lo_u32 v10, s0, v5
	v_mul_lo_u32 v11, s1, v9
	v_mad_u64_u32 v[6:7], s[0:1], s0, v9, v[6:7]
	s_add_u32 s22, s22, 1
	s_addc_u32 s23, s23, 0
	s_add_u32 s2, s2, 8
	v_mul_lo_u32 v5, s24, v5
	v_mul_lo_u32 v12, s25, v9
	v_mad_u64_u32 v[1:2], s[0:1], s24, v9, v[1:2]
	v_add3_u32 v7, v11, v7, v10
	s_addc_u32 s3, s3, 0
	v_mov_b32_e32 v9, s14
	s_add_u32 s6, s6, 8
	v_mov_b32_e32 v10, s15
	s_addc_u32 s7, s7, 0
	v_cmp_ge_u64_e32 vcc, s[22:23], v[9:10]
	s_add_u32 s20, s20, 8
	v_add3_u32 v2, v12, v2, v5
	s_addc_u32 s21, s21, 0
	s_cbranch_vccnz .LBB0_9
; %bb.7:                                ;   in Loop: Header=BB0_2 Depth=1
	v_mov_b32_e32 v11, v4
	v_mov_b32_e32 v10, v3
	s_branch .LBB0_2
.LBB0_8:
	v_mov_b32_e32 v1, v6
	v_mov_b32_e32 v3, v10
	;; [unrolled: 1-line block ×4, first 2 shown]
.LBB0_9:
	s_load_dwordx2 s[0:1], s[4:5], 0x28
	s_lshl_b64 s[6:7], s[14:15], 3
	s_add_u32 s4, s18, s6
	s_addc_u32 s5, s19, s7
                                        ; implicit-def: $vgpr5
                                        ; implicit-def: $vgpr8_vgpr9
	s_waitcnt lgkmcnt(0)
	v_cmp_gt_u64_e32 vcc, s[0:1], v[3:4]
	v_cmp_le_u64_e64 s[0:1], s[0:1], v[3:4]
	s_and_saveexec_b64 s[2:3], s[0:1]
	s_xor_b64 s[0:1], exec, s[2:3]
; %bb.10:
	s_mov_b32 s2, 0x4104105
	v_mul_hi_u32 v5, v0, s2
	v_mov_b32_e32 v6, 0
	v_mul_u32_u24_e32 v5, 63, v5
	v_sub_u32_e32 v5, v0, v5
	v_mov_b32_e32 v9, v6
	v_mov_b32_e32 v8, v5
                                        ; implicit-def: $vgpr0
                                        ; implicit-def: $vgpr6_vgpr7
; %bb.11:
	s_or_saveexec_b64 s[2:3], s[0:1]
	s_load_dwordx2 s[4:5], s[4:5], 0x0
	s_xor_b64 exec, exec, s[2:3]
	s_cbranch_execz .LBB0_15
; %bb.12:
	s_add_u32 s0, s16, s6
	s_addc_u32 s1, s17, s7
	s_load_dwordx2 s[0:1], s[0:1], 0x0
	s_mov_b32 s6, 0x4104105
	v_mul_hi_u32 v5, v0, s6
	v_lshlrev_b64 v[6:7], 2, v[6:7]
	s_waitcnt lgkmcnt(0)
	v_mul_lo_u32 v10, s1, v3
	v_mul_lo_u32 v11, s0, v4
	v_mad_u64_u32 v[8:9], s[0:1], s0, v3, 0
	v_mul_u32_u24_e32 v5, 63, v5
	v_sub_u32_e32 v5, v0, v5
	v_add3_u32 v9, v9, v11, v10
	v_lshlrev_b64 v[8:9], 2, v[8:9]
	v_mov_b32_e32 v0, s9
	v_add_co_u32_e64 v8, s[0:1], s8, v8
	v_addc_co_u32_e64 v0, s[0:1], v0, v9, s[0:1]
	v_add_co_u32_e64 v10, s[0:1], v8, v6
	v_addc_co_u32_e64 v11, s[0:1], v0, v7, s[0:1]
	v_lshlrev_b32_e32 v0, 2, v5
	v_add_co_u32_e64 v6, s[0:1], v10, v0
	v_addc_co_u32_e64 v7, s[0:1], 0, v11, s[0:1]
	global_load_dword v8, v[6:7], off
	global_load_dword v9, v[6:7], off offset:252
	global_load_dword v12, v[6:7], off offset:504
	;; [unrolled: 1-line block ×9, first 2 shown]
	v_mov_b32_e32 v6, 0
	v_add_u32_e32 v0, 0, v0
	v_add_u32_e32 v7, 0x200, v0
	;; [unrolled: 1-line block ×4, first 2 shown]
	v_cmp_eq_u32_e64 s[0:1], 62, v5
	s_waitcnt vmcnt(8)
	ds_write2_b32 v0, v8, v9 offset1:63
	s_waitcnt vmcnt(6)
	ds_write2_b32 v0, v12, v13 offset0:126 offset1:189
	s_waitcnt vmcnt(4)
	ds_write2_b32 v7, v14, v15 offset0:124 offset1:187
	;; [unrolled: 2-line block ×4, first 2 shown]
	v_mov_b32_e32 v9, v6
	v_mov_b32_e32 v8, v5
	s_and_saveexec_b64 s[6:7], s[0:1]
	s_cbranch_execz .LBB0_14
; %bb.13:
	global_load_dword v0, v[10:11], off offset:2520
	v_mov_b32_e32 v8, 62
	v_mov_b32_e32 v9, 0
	;; [unrolled: 1-line block ×3, first 2 shown]
	s_waitcnt vmcnt(0)
	ds_write_b32 v6, v0 offset:2520
.LBB0_14:
	s_or_b64 exec, exec, s[6:7]
.LBB0_15:
	s_or_b64 exec, exec, s[2:3]
	v_lshlrev_b32_e32 v6, 2, v5
	v_add_u32_e32 v0, 0, v6
	s_waitcnt lgkmcnt(0)
	; wave barrier
	s_waitcnt lgkmcnt(0)
	v_sub_u32_e32 v11, 0, v6
	ds_read_u16 v6, v0
	ds_read_u16 v10, v11 offset:2520
	v_lshlrev_b64 v[7:8], 2, v[8:9]
	v_cmp_ne_u32_e64 s[0:1], 0, v5
	s_waitcnt lgkmcnt(0)
	v_add_f16_e32 v12, v10, v6
	v_sub_f16_e32 v13, v6, v10
	s_and_saveexec_b64 s[2:3], s[0:1]
	s_xor_b64 s[2:3], exec, s[2:3]
	s_cbranch_execz .LBB0_17
; %bb.16:
	v_mov_b32_e32 v9, s13
	v_add_co_u32_e64 v12, s[0:1], s12, v7
	v_addc_co_u32_e64 v13, s[0:1], v9, v8, s[0:1]
	global_load_dword v9, v[12:13], off offset:2508
	ds_read_u16 v12, v11 offset:2522
	ds_read_u16 v13, v0 offset:2
	v_add_f16_e32 v14, v10, v6
	v_sub_f16_e32 v6, v6, v10
	s_waitcnt lgkmcnt(0)
	v_add_f16_e32 v10, v12, v13
	v_sub_f16_e32 v12, v13, v12
	s_waitcnt vmcnt(0)
	v_lshrrev_b32_e32 v13, 16, v9
	v_fma_f16 v15, v6, v13, v14
	v_fma_f16 v16, v10, v13, v12
	v_fma_f16 v14, -v6, v13, v14
	v_fma_f16 v17, v10, v13, -v12
	v_fma_f16 v12, -v9, v10, v15
	v_fma_f16 v13, v6, v9, v16
	v_fma_f16 v10, v9, v10, v14
	;; [unrolled: 1-line block ×3, first 2 shown]
	v_pack_b32_f16 v6, v10, v6
	ds_write_b32 v11, v6 offset:2520
.LBB0_17:
	s_andn2_saveexec_b64 s[0:1], s[2:3]
	s_cbranch_execz .LBB0_19
; %bb.18:
	v_mov_b32_e32 v6, 0
	ds_read_b32 v9, v6 offset:1260
	s_mov_b32 s2, 0xc0004000
	s_waitcnt lgkmcnt(0)
	v_pk_mul_f16 v9, v9, s2
	ds_write_b32 v6, v9 offset:1260
.LBB0_19:
	s_or_b64 exec, exec, s[0:1]
	v_mov_b32_e32 v6, 0
	s_add_u32 s0, s12, 0x9cc
	v_lshlrev_b64 v[9:10], 2, v[5:6]
	s_addc_u32 s1, s13, 0
	v_mov_b32_e32 v6, s1
	v_add_co_u32_e64 v14, s[0:1], s0, v9
	v_addc_co_u32_e64 v15, s[0:1], v6, v10, s[0:1]
	global_load_dword v6, v[14:15], off offset:252
	global_load_dword v16, v[14:15], off offset:504
	;; [unrolled: 1-line block ×4, first 2 shown]
	s_mov_b32 s6, 0x5040100
	v_perm_b32 v12, v13, v12, s6
	ds_write_b32 v0, v12
	ds_read_b32 v12, v0 offset:252
	ds_read_b32 v13, v11 offset:2268
	v_add_u32_e32 v22, 0x800, v0
	s_movk_i32 s0, 0x3aee
	s_mov_b32 s1, 0xffff
	s_waitcnt lgkmcnt(0)
	v_add_f16_e32 v14, v12, v13
	v_add_f16_sdwa v15, v13, v12 dst_sel:DWORD dst_unused:UNUSED_PAD src0_sel:WORD_1 src1_sel:WORD_1
	v_sub_f16_e32 v19, v12, v13
	v_sub_f16_sdwa v12, v12, v13 dst_sel:DWORD dst_unused:UNUSED_PAD src0_sel:WORD_1 src1_sel:WORD_1
	s_waitcnt vmcnt(3)
	v_lshrrev_b32_e32 v13, 16, v6
	v_fma_f16 v20, v19, v13, v14
	v_fma_f16 v21, v15, v13, v12
	v_fma_f16 v14, -v19, v13, v14
	v_fma_f16 v12, v15, v13, -v12
	v_fma_f16 v13, -v6, v15, v20
	v_fma_f16 v20, v19, v6, v21
	v_fma_f16 v14, v6, v15, v14
	;; [unrolled: 1-line block ×3, first 2 shown]
	v_pack_b32_f16 v12, v13, v20
	v_pack_b32_f16 v6, v14, v6
	ds_write_b32 v0, v12 offset:252
	ds_write_b32 v11, v6 offset:2268
	ds_read_b32 v12, v0 offset:504
	ds_read_b32 v13, v11 offset:2016
	s_waitcnt vmcnt(2)
	v_lshrrev_b32_e32 v14, 16, v16
	v_add_u32_e32 v6, 0x400, v0
	s_waitcnt lgkmcnt(0)
	v_add_f16_e32 v15, v12, v13
	v_add_f16_sdwa v19, v13, v12 dst_sel:DWORD dst_unused:UNUSED_PAD src0_sel:WORD_1 src1_sel:WORD_1
	v_sub_f16_e32 v20, v12, v13
	v_sub_f16_sdwa v12, v12, v13 dst_sel:DWORD dst_unused:UNUSED_PAD src0_sel:WORD_1 src1_sel:WORD_1
	v_fma_f16 v13, v20, v14, v15
	v_fma_f16 v21, v19, v14, v12
	v_fma_f16 v15, -v20, v14, v15
	v_fma_f16 v12, v19, v14, -v12
	v_fma_f16 v13, -v16, v19, v13
	v_fma_f16 v14, v20, v16, v21
	v_fma_f16 v15, v16, v19, v15
	;; [unrolled: 1-line block ×3, first 2 shown]
	v_pack_b32_f16 v13, v13, v14
	v_pack_b32_f16 v12, v15, v12
	ds_write_b32 v0, v13 offset:504
	ds_write_b32 v11, v12 offset:2016
	ds_read_b32 v12, v0 offset:756
	ds_read_b32 v13, v11 offset:1764
	s_waitcnt vmcnt(1)
	v_lshrrev_b32_e32 v15, 16, v17
	v_add_u32_e32 v14, 0x200, v0
	s_waitcnt lgkmcnt(0)
	v_add_f16_e32 v16, v12, v13
	v_add_f16_sdwa v19, v13, v12 dst_sel:DWORD dst_unused:UNUSED_PAD src0_sel:WORD_1 src1_sel:WORD_1
	v_sub_f16_e32 v20, v12, v13
	v_sub_f16_sdwa v12, v12, v13 dst_sel:DWORD dst_unused:UNUSED_PAD src0_sel:WORD_1 src1_sel:WORD_1
	v_fma_f16 v13, v20, v15, v16
	v_fma_f16 v21, v19, v15, v12
	v_fma_f16 v16, -v20, v15, v16
	v_fma_f16 v12, v19, v15, -v12
	v_fma_f16 v13, -v17, v19, v13
	v_fma_f16 v15, v20, v17, v21
	v_fma_f16 v16, v17, v19, v16
	;; [unrolled: 1-line block ×3, first 2 shown]
	v_pack_b32_f16 v13, v13, v15
	v_pack_b32_f16 v12, v16, v12
	ds_write_b32 v0, v13 offset:756
	ds_write_b32 v11, v12 offset:1764
	ds_read_b32 v12, v0 offset:1008
	ds_read_b32 v15, v11 offset:1512
	s_waitcnt vmcnt(0)
	v_lshrrev_b32_e32 v16, 16, v18
	v_lshlrev_b32_e32 v13, 3, v5
	v_add_u32_e32 v13, v0, v13
	s_waitcnt lgkmcnt(0)
	v_add_f16_e32 v17, v12, v15
	v_add_f16_sdwa v19, v15, v12 dst_sel:DWORD dst_unused:UNUSED_PAD src0_sel:WORD_1 src1_sel:WORD_1
	v_sub_f16_e32 v20, v12, v15
	v_sub_f16_sdwa v12, v12, v15 dst_sel:DWORD dst_unused:UNUSED_PAD src0_sel:WORD_1 src1_sel:WORD_1
	v_fma_f16 v15, v20, v16, v17
	v_fma_f16 v21, v19, v16, v12
	v_fma_f16 v17, -v20, v16, v17
	v_fma_f16 v12, v19, v16, -v12
	v_fma_f16 v15, -v18, v19, v15
	v_fma_f16 v16, v20, v18, v21
	v_fma_f16 v17, v18, v19, v17
	;; [unrolled: 1-line block ×3, first 2 shown]
	v_pack_b32_f16 v15, v15, v16
	v_pack_b32_f16 v12, v17, v12
	ds_write_b32 v0, v15 offset:1008
	ds_write_b32 v11, v12 offset:1512
	s_waitcnt lgkmcnt(0)
	; wave barrier
	s_waitcnt lgkmcnt(0)
	s_waitcnt lgkmcnt(0)
	; wave barrier
	s_waitcnt lgkmcnt(0)
	ds_read2_b32 v[11:12], v0 offset1:63
	ds_read2_b32 v[14:15], v14 offset0:82 offset1:145
	ds_read2_b32 v[16:17], v6 offset0:164 offset1:227
	;; [unrolled: 1-line block ×5, first 2 shown]
	s_waitcnt lgkmcnt(4)
	v_pk_add_f16 v24, v11, v14
	s_waitcnt lgkmcnt(3)
	v_pk_add_f16 v25, v14, v16
	v_pk_add_f16 v14, v14, v16 neg_lo:[0,1] neg_hi:[0,1]
	v_pk_fma_f16 v11, v25, 0.5, v11 op_sel_hi:[1,0,1] neg_lo:[1,0,0] neg_hi:[1,0,0]
	v_pk_mul_f16 v14, v14, s0 op_sel_hi:[1,0]
	v_pk_add_f16 v26, v12, v15
	v_pk_add_f16 v27, v15, v17
	v_pk_add_f16 v15, v15, v17 neg_lo:[0,1] neg_hi:[0,1]
	v_pk_add_f16 v16, v24, v16
	v_pk_add_f16 v24, v11, v14 op_sel:[0,1] op_sel_hi:[1,0] neg_lo:[0,1] neg_hi:[0,1]
	v_pk_add_f16 v14, v11, v14 op_sel:[0,1] op_sel_hi:[1,0]
	v_pk_fma_f16 v12, v27, 0.5, v12 op_sel_hi:[1,0,1] neg_lo:[1,0,0] neg_hi:[1,0,0]
	v_pk_mul_f16 v15, v15, s0 op_sel_hi:[1,0]
	v_bfi_b32 v11, s1, v24, v14
	s_waitcnt lgkmcnt(0)
	; wave barrier
	s_waitcnt lgkmcnt(0)
	ds_write2_b32 v13, v16, v11 offset1:1
	v_pk_add_f16 v16, v12, v15 op_sel:[0,1] op_sel_hi:[1,0] neg_lo:[0,1] neg_hi:[0,1]
	v_pk_add_f16 v15, v12, v15 op_sel:[0,1] op_sel_hi:[1,0]
	v_pk_add_f16 v17, v26, v17
	v_bfi_b32 v11, s1, v16, v15
	ds_write2_b32 v13, v17, v11 offset0:189 offset1:190
	v_pk_add_f16 v11, v21, v23
	v_pk_fma_f16 v17, v11, 0.5, v19 op_sel_hi:[1,0,1] neg_lo:[1,0,0] neg_hi:[1,0,0]
	v_pk_add_f16 v11, v21, v23 neg_lo:[0,1] neg_hi:[0,1]
	v_pk_add_f16 v28, v19, v21
	v_pk_mul_f16 v19, v11, s0 op_sel_hi:[1,0]
	v_pk_add_f16 v12, v17, v19 op_sel:[0,1] op_sel_hi:[1,0] neg_lo:[0,1] neg_hi:[0,1]
	v_pk_add_f16 v17, v19, v17 op_sel:[1,0] op_sel_hi:[0,1]
	v_bfi_b32 v14, s1, v14, v24
	v_bfi_b32 v15, s1, v15, v16
	v_pk_add_f16 v11, v28, v23
	v_lshrrev_b32_e32 v23, 16, v17
	v_bfi_b32 v24, s1, v17, v12
	ds_write2_b32 v13, v14, v15 offset0:2 offset1:191
	v_pk_add_f16 v15, v20, v22
	v_pk_add_f16 v17, v20, v22 neg_lo:[0,1] neg_hi:[0,1]
	v_pk_fma_f16 v15, v15, 0.5, v18 op_sel_hi:[1,0,1] neg_lo:[1,0,0] neg_hi:[1,0,0]
	v_pk_mul_f16 v17, v17, s0 op_sel_hi:[1,0]
	v_pk_add_f16 v14, v18, v20
	v_pk_add_f16 v18, v15, v17 op_sel:[0,1] op_sel_hi:[1,0] neg_lo:[0,1] neg_hi:[0,1]
	v_pk_add_f16 v15, v15, v17 op_sel:[0,1] op_sel_hi:[1,0]
	v_add_u32_e32 v16, 0x5e8, v13
	v_pk_add_f16 v14, v14, v22
	v_bfi_b32 v17, s1, v18, v15
	ds_write2_b32 v16, v14, v17 offset1:1
	v_bfi_b32 v14, s1, v15, v18
	v_cmp_gt_u32_e64 s[0:1], 21, v5
	ds_write_b32 v13, v14 offset:1520
	s_and_saveexec_b64 s[2:3], s[0:1]
	s_cbranch_execz .LBB0_21
; %bb.20:
	v_add_u32_e32 v14, 0x8dc, v13
	v_perm_b32 v15, v23, v12, s6
	ds_write2_b32 v14, v11, v15 offset1:1
	ds_write_b32 v13, v24 offset:2276
.LBB0_21:
	s_or_b64 exec, exec, s[2:3]
	s_waitcnt lgkmcnt(0)
	; wave barrier
	s_waitcnt lgkmcnt(0)
	ds_read2_b32 v[15:16], v0 offset1:63
	ds_read2_b32 v[13:14], v0 offset0:126 offset1:210
	ds_read2_b32 v[17:18], v6 offset0:164 offset1:227
	;; [unrolled: 1-line block ×3, first 2 shown]
	ds_read_b32 v6, v0 offset:2184
	s_and_saveexec_b64 s[2:3], s[0:1]
	s_cbranch_execz .LBB0_23
; %bb.22:
	v_add_u32_e32 v11, 0x280, v0
	ds_read2_b32 v[11:12], v11 offset0:29 offset1:239
	ds_read_b32 v24, v0 offset:2436
	s_waitcnt lgkmcnt(1)
	v_lshrrev_b32_e32 v23, 16, v12
.LBB0_23:
	s_or_b64 exec, exec, s[2:3]
	s_movk_i32 s2, 0xab
	v_add_u16_e32 v21, 0x7e, v5
	v_mul_lo_u16_sdwa v22, v21, s2 dst_sel:DWORD dst_unused:UNUSED_PAD src0_sel:BYTE_0 src1_sel:DWORD
	v_lshrrev_b16_e32 v30, 9, v22
	v_mul_lo_u16_e32 v22, 3, v30
	v_mov_b32_e32 v29, 3
	v_sub_u16_e32 v31, v21, v22
	v_lshlrev_b32_sdwa v21, v29, v31 dst_sel:DWORD dst_unused:UNUSED_PAD src0_sel:DWORD src1_sel:BYTE_0
	global_load_dwordx2 v[25:26], v21, s[12:13]
	s_waitcnt lgkmcnt(0)
	v_lshrrev_b32_e32 v32, 16, v6
	v_add_u16_e32 v22, 0xbd, v5
	v_mul_lo_u16_sdwa v21, v22, s2 dst_sel:DWORD dst_unused:UNUSED_PAD src0_sel:BYTE_0 src1_sel:DWORD
	v_lshrrev_b16_e32 v21, 9, v21
	v_mul_lo_u16_e32 v27, 3, v21
	v_sub_u16_e32 v22, v22, v27
	v_lshlrev_b32_sdwa v27, v29, v22 dst_sel:DWORD dst_unused:UNUSED_PAD src0_sel:DWORD src1_sel:BYTE_0
	global_load_dwordx2 v[27:28], v27, s[12:13]
	s_movk_i32 s3, 0x3aee
	s_waitcnt vmcnt(1)
	v_mul_f16_sdwa v33, v26, v32 dst_sel:DWORD dst_unused:UNUSED_PAD src0_sel:WORD_1 src1_sel:DWORD
	v_fma_f16 v33, v26, v6, v33
	v_mul_f16_sdwa v6, v26, v6 dst_sel:DWORD dst_unused:UNUSED_PAD src0_sel:WORD_1 src1_sel:DWORD
	v_fma_f16 v32, v26, v32, -v6
	v_lshrrev_b32_e32 v6, 16, v20
	v_mul_f16_sdwa v26, v25, v20 dst_sel:DWORD dst_unused:UNUSED_PAD src0_sel:WORD_1 src1_sel:DWORD
	v_fma_f16 v34, v25, v6, -v26
	v_mul_f16_sdwa v6, v25, v6 dst_sel:DWORD dst_unused:UNUSED_PAD src0_sel:WORD_1 src1_sel:DWORD
	v_fma_f16 v35, v25, v20, v6
	v_add_u16_e32 v6, 63, v5
	v_mul_lo_u16_sdwa v20, v6, s2 dst_sel:DWORD dst_unused:UNUSED_PAD src0_sel:BYTE_0 src1_sel:DWORD
	v_lshrrev_b16_e32 v36, 9, v20
	v_mul_lo_u16_e32 v20, 3, v36
	v_sub_u16_e32 v37, v6, v20
	v_lshlrev_b32_sdwa v20, v29, v37 dst_sel:DWORD dst_unused:UNUSED_PAD src0_sel:DWORD src1_sel:BYTE_0
	global_load_dwordx2 v[25:26], v20, s[12:13]
	v_lshrrev_b32_e32 v20, 16, v19
	s_waitcnt vmcnt(0)
	v_mul_f16_sdwa v38, v25, v20 dst_sel:DWORD dst_unused:UNUSED_PAD src0_sel:WORD_1 src1_sel:DWORD
	v_fma_f16 v38, v25, v19, v38
	v_mul_f16_sdwa v19, v25, v19 dst_sel:DWORD dst_unused:UNUSED_PAD src0_sel:WORD_1 src1_sel:DWORD
	v_fma_f16 v25, v25, v20, -v19
	v_lshrrev_b32_e32 v19, 16, v18
	v_mul_f16_sdwa v20, v26, v18 dst_sel:DWORD dst_unused:UNUSED_PAD src0_sel:WORD_1 src1_sel:DWORD
	v_fma_f16 v39, v26, v19, -v20
	v_mul_f16_sdwa v19, v26, v19 dst_sel:DWORD dst_unused:UNUSED_PAD src0_sel:WORD_1 src1_sel:DWORD
	v_fma_f16 v26, v26, v18, v19
	v_mul_lo_u16_sdwa v18, v5, s2 dst_sel:DWORD dst_unused:UNUSED_PAD src0_sel:BYTE_0 src1_sel:DWORD
	v_lshrrev_b16_e32 v40, 9, v18
	v_mul_lo_u16_e32 v18, 3, v40
	v_sub_u16_e32 v41, v5, v18
	v_lshlrev_b32_sdwa v18, v29, v41 dst_sel:DWORD dst_unused:UNUSED_PAD src0_sel:DWORD src1_sel:BYTE_0
	global_load_dwordx2 v[18:19], v18, s[12:13]
	v_lshrrev_b32_e32 v20, 16, v17
	s_mov_b32 s2, 0xbaee
	s_waitcnt lgkmcnt(0)
	; wave barrier
	s_waitcnt vmcnt(0)
	v_mul_f16_sdwa v29, v19, v20 dst_sel:DWORD dst_unused:UNUSED_PAD src0_sel:WORD_1 src1_sel:DWORD
	v_fma_f16 v29, v19, v17, v29
	v_mul_f16_sdwa v17, v19, v17 dst_sel:DWORD dst_unused:UNUSED_PAD src0_sel:WORD_1 src1_sel:DWORD
	v_fma_f16 v42, v19, v20, -v17
	v_lshrrev_b32_e32 v17, 16, v14
	v_mul_f16_sdwa v19, v18, v14 dst_sel:DWORD dst_unused:UNUSED_PAD src0_sel:WORD_1 src1_sel:DWORD
	v_fma_f16 v43, v18, v17, -v19
	v_mul_f16_sdwa v17, v18, v17 dst_sel:DWORD dst_unused:UNUSED_PAD src0_sel:WORD_1 src1_sel:DWORD
	v_fma_f16 v44, v18, v14, v17
	v_lshrrev_b32_e32 v17, 16, v24
	v_mul_f16_sdwa v18, v24, v28 dst_sel:DWORD dst_unused:UNUSED_PAD src0_sel:DWORD src1_sel:WORD_1
	v_mul_f16_sdwa v14, v17, v28 dst_sel:DWORD dst_unused:UNUSED_PAD src0_sel:DWORD src1_sel:WORD_1
	v_fma_f16 v18, v17, v28, -v18
	v_mul_f16_sdwa v17, v12, v27 dst_sel:DWORD dst_unused:UNUSED_PAD src0_sel:DWORD src1_sel:WORD_1
	v_fma_f16 v20, v23, v27, -v17
	v_mul_f16_sdwa v17, v23, v27 dst_sel:DWORD dst_unused:UNUSED_PAD src0_sel:DWORD src1_sel:WORD_1
	v_fma_f16 v19, v12, v27, v17
	v_mov_b32_e32 v17, 2
	v_fma_f16 v14, v24, v28, v14
	v_mul_u32_u24_e32 v12, 36, v40
	v_lshlrev_b32_sdwa v23, v17, v41 dst_sel:DWORD dst_unused:UNUSED_PAD src0_sel:DWORD src1_sel:BYTE_0
	v_lshrrev_b32_e32 v28, 16, v15
	v_add3_u32 v12, 0, v12, v23
	v_add_f16_e32 v23, v15, v44
	v_add_f16_e32 v24, v44, v29
	v_add_f16_e32 v40, v28, v43
	v_add_f16_e32 v41, v43, v42
	v_sub_f16_e32 v27, v44, v29
	v_add_f16_e32 v23, v23, v29
	v_sub_f16_e32 v29, v43, v42
	v_add_f16_e32 v40, v40, v42
	v_fma_f16 v28, v41, -0.5, v28
	v_fma_f16 v15, v24, -0.5, v15
	v_pack_b32_f16 v23, v23, v40
	v_fma_f16 v24, v29, s2, v15
	v_fma_f16 v40, v27, s3, v28
	v_pack_b32_f16 v24, v24, v40
	ds_write2_b32 v12, v23, v24 offset1:3
	v_fma_f16 v15, v29, s3, v15
	v_fma_f16 v23, v27, s2, v28
	v_pack_b32_f16 v15, v15, v23
	ds_write_b32 v12, v15 offset:24
	v_add_f16_e32 v12, v38, v26
	v_lshrrev_b32_e32 v15, 16, v16
	v_fma_f16 v12, v12, -0.5, v16
	v_add_f16_e32 v16, v16, v38
	v_add_f16_e32 v23, v15, v25
	v_sub_f16_e32 v24, v25, v39
	v_add_f16_e32 v25, v25, v39
	v_add_f16_e32 v23, v23, v39
	v_fma_f16 v15, v25, -0.5, v15
	v_add_f16_e32 v16, v16, v26
	v_sub_f16_e32 v25, v38, v26
	v_mul_u32_u24_e32 v26, 36, v36
	v_lshlrev_b32_sdwa v27, v17, v37 dst_sel:DWORD dst_unused:UNUSED_PAD src0_sel:DWORD src1_sel:BYTE_0
	v_add3_u32 v26, 0, v26, v27
	v_pack_b32_f16 v16, v16, v23
	v_fma_f16 v23, v24, s2, v12
	v_fma_f16 v27, v25, s3, v15
	v_pack_b32_f16 v23, v23, v27
	ds_write2_b32 v26, v16, v23 offset1:3
	v_add_f16_e32 v16, v35, v33
	v_fma_f16 v12, v24, s3, v12
	v_fma_f16 v16, v16, -0.5, v13
	v_lshrrev_b32_e32 v23, 16, v13
	v_sub_f16_e32 v24, v34, v32
	v_fma_f16 v15, v25, s2, v15
	v_fma_f16 v25, v24, s2, v16
	;; [unrolled: 1-line block ×3, first 2 shown]
	v_add_f16_e32 v24, v23, v34
	v_add_f16_e32 v27, v24, v32
	v_add_f16_e32 v24, v34, v32
	v_fma_f16 v23, v24, -0.5, v23
	v_sub_f16_e32 v24, v35, v33
	v_fma_f16 v28, v24, s3, v23
	v_fma_f16 v29, v24, s2, v23
	v_add_f16_e32 v23, v20, v18
	v_pack_b32_f16 v12, v12, v15
	v_lshrrev_b32_e32 v15, 16, v11
	v_fma_f16 v24, v23, -0.5, v15
	ds_write_b32 v26, v12 offset:24
	v_sub_f16_e32 v12, v19, v14
	v_add_f16_e32 v13, v13, v35
	v_fma_f16 v23, v12, s3, v24
	v_fma_f16 v24, v12, s2, v24
	v_add_f16_e32 v12, v19, v14
	v_add_f16_e32 v13, v13, v33
	v_fma_f16 v26, v12, -0.5, v11
	v_mul_u32_u24_e32 v12, 36, v30
	v_lshlrev_b32_sdwa v30, v17, v31 dst_sel:DWORD dst_unused:UNUSED_PAD src0_sel:DWORD src1_sel:BYTE_0
	v_sub_f16_e32 v31, v20, v18
	v_add3_u32 v30, 0, v12, v30
	v_pack_b32_f16 v27, v13, v27
	v_pack_b32_f16 v25, v25, v28
	v_fma_f16 v12, v31, s2, v26
	v_fma_f16 v13, v31, s3, v26
	v_pack_b32_f16 v16, v16, v29
	ds_write2_b32 v30, v27, v25 offset1:3
	ds_write_b32 v30, v16 offset:24
	s_and_saveexec_b64 s[2:3], s[0:1]
	s_cbranch_execz .LBB0_25
; %bb.24:
	v_add_f16_e32 v15, v15, v20
	v_add_f16_e32 v11, v11, v19
	;; [unrolled: 1-line block ×4, first 2 shown]
	v_mul_u32_u24_e32 v14, 36, v21
	v_lshlrev_b32_sdwa v16, v17, v22 dst_sel:DWORD dst_unused:UNUSED_PAD src0_sel:DWORD src1_sel:BYTE_0
	s_mov_b32 s0, 0x5040100
	v_add3_u32 v14, 0, v14, v16
	v_pack_b32_f16 v11, v11, v15
	v_perm_b32 v15, v23, v12, s0
	ds_write2_b32 v14, v11, v15 offset1:3
	v_perm_b32 v11, v24, v13, s0
	ds_write_b32 v14, v11 offset:24
.LBB0_25:
	s_or_b64 exec, exec, s[2:3]
	v_mov_b32_e32 v11, 57
	v_mul_lo_u16_sdwa v14, v5, v11 dst_sel:DWORD dst_unused:UNUSED_PAD src0_sel:BYTE_0 src1_sel:DWORD
	v_lshrrev_b16_e32 v22, 9, v14
	v_mul_lo_u16_e32 v14, 9, v22
	v_sub_u16_e32 v36, v5, v14
	v_mov_b32_e32 v14, 4
	v_lshlrev_b32_sdwa v15, v14, v36 dst_sel:DWORD dst_unused:UNUSED_PAD src0_sel:DWORD src1_sel:BYTE_0
	v_mul_lo_u16_sdwa v11, v6, v11 dst_sel:DWORD dst_unused:UNUSED_PAD src0_sel:BYTE_0 src1_sel:DWORD
	s_waitcnt lgkmcnt(0)
	; wave barrier
	s_waitcnt lgkmcnt(0)
	global_load_dwordx4 v[18:21], v15, s[12:13] offset:24
	v_lshrrev_b16_e32 v37, 9, v11
	v_mul_lo_u16_e32 v11, 9, v37
	v_sub_u16_e32 v11, v6, v11
	v_lshlrev_b32_sdwa v14, v14, v11 dst_sel:DWORD dst_unused:UNUSED_PAD src0_sel:DWORD src1_sel:BYTE_0
	global_load_dwordx4 v[26:29], v14, s[12:13] offset:24
	ds_read2_b32 v[15:16], v0 offset0:126 offset1:189
	v_add_u32_e32 v25, 0x200, v0
	v_add_u32_e32 v38, 0x400, v0
	;; [unrolled: 1-line block ×3, first 2 shown]
	ds_read2_b32 v[30:31], v25 offset0:124 offset1:187
	ds_read2_b32 v[32:33], v38 offset0:122 offset1:185
	;; [unrolled: 1-line block ×3, first 2 shown]
	v_lshlrev_b32_sdwa v40, v17, v11 dst_sel:DWORD dst_unused:UNUSED_PAD src0_sel:DWORD src1_sel:BYTE_0
	v_lshlrev_b32_sdwa v36, v17, v36 dst_sel:DWORD dst_unused:UNUSED_PAD src0_sel:DWORD src1_sel:BYTE_0
	s_waitcnt lgkmcnt(2)
	v_lshrrev_b32_e32 v11, 16, v30
	v_lshrrev_b32_e32 v39, 16, v15
	s_waitcnt lgkmcnt(1)
	v_lshrrev_b32_e32 v17, 16, v32
	s_waitcnt lgkmcnt(0)
	v_lshrrev_b32_e32 v41, 16, v34
	s_mov_b32 s3, 0xbb9c
	s_movk_i32 s2, 0x3b9c
	s_mov_b32 s0, 0xb8b4
	s_movk_i32 s6, 0x38b4
	s_movk_i32 s1, 0x34f2
	v_mul_u32_u24_e32 v22, 0xb4, v22
	v_add3_u32 v22, 0, v22, v36
	s_waitcnt vmcnt(1)
	v_mul_f16_sdwa v45, v19, v30 dst_sel:DWORD dst_unused:UNUSED_PAD src0_sel:WORD_1 src1_sel:DWORD
	v_mul_f16_sdwa v43, v18, v15 dst_sel:DWORD dst_unused:UNUSED_PAD src0_sel:WORD_1 src1_sel:DWORD
	v_mul_f16_sdwa v44, v19, v11 dst_sel:DWORD dst_unused:UNUSED_PAD src0_sel:WORD_1 src1_sel:DWORD
	v_fma_f16 v11, v19, v11, -v45
	v_mul_f16_sdwa v45, v20, v32 dst_sel:DWORD dst_unused:UNUSED_PAD src0_sel:WORD_1 src1_sel:DWORD
	v_mul_f16_sdwa v42, v18, v39 dst_sel:DWORD dst_unused:UNUSED_PAD src0_sel:WORD_1 src1_sel:DWORD
	v_fma_f16 v39, v18, v39, -v43
	v_mul_f16_sdwa v43, v20, v17 dst_sel:DWORD dst_unused:UNUSED_PAD src0_sel:WORD_1 src1_sel:DWORD
	v_fma_f16 v45, v20, v17, -v45
	v_mul_f16_sdwa v17, v21, v34 dst_sel:DWORD dst_unused:UNUSED_PAD src0_sel:WORD_1 src1_sel:DWORD
	v_fma_f16 v46, v21, v41, -v17
	v_mul_f16_sdwa v17, v21, v41 dst_sel:DWORD dst_unused:UNUSED_PAD src0_sel:WORD_1 src1_sel:DWORD
	v_fma_f16 v41, v18, v15, v42
	v_lshrrev_b32_e32 v15, 16, v16
	v_fma_f16 v21, v21, v34, v17
	v_lshrrev_b32_e32 v17, 16, v31
	s_waitcnt vmcnt(0)
	v_mul_f16_sdwa v18, v26, v15 dst_sel:DWORD dst_unused:UNUSED_PAD src0_sel:WORD_1 src1_sel:DWORD
	v_fma_f16 v20, v20, v32, v43
	v_fma_f16 v32, v26, v16, v18
	v_mul_f16_sdwa v18, v17, v27 dst_sel:DWORD dst_unused:UNUSED_PAD src0_sel:DWORD src1_sel:WORD_1
	v_fma_f16 v34, v31, v27, v18
	v_mul_f16_sdwa v18, v31, v27 dst_sel:DWORD dst_unused:UNUSED_PAD src0_sel:DWORD src1_sel:WORD_1
	v_fma_f16 v43, v17, v27, -v18
	ds_read2_b32 v[17:18], v0 offset1:63
	v_fma_f16 v19, v19, v30, v44
	v_lshrrev_b32_e32 v30, 16, v33
	v_mul_f16_sdwa v16, v26, v16 dst_sel:DWORD dst_unused:UNUSED_PAD src0_sel:WORD_1 src1_sel:DWORD
	v_lshrrev_b32_e32 v42, 16, v35
	v_mul_f16_sdwa v31, v30, v28 dst_sel:DWORD dst_unused:UNUSED_PAD src0_sel:DWORD src1_sel:WORD_1
	v_fma_f16 v26, v26, v15, -v16
	v_mul_f16_sdwa v15, v42, v29 dst_sel:DWORD dst_unused:UNUSED_PAD src0_sel:DWORD src1_sel:WORD_1
	v_fma_f16 v31, v33, v28, v31
	v_mul_f16_sdwa v33, v33, v28 dst_sel:DWORD dst_unused:UNUSED_PAD src0_sel:DWORD src1_sel:WORD_1
	v_fma_f16 v27, v35, v29, v15
	v_mul_f16_sdwa v16, v35, v29 dst_sel:DWORD dst_unused:UNUSED_PAD src0_sel:DWORD src1_sel:WORD_1
	v_fma_f16 v28, v30, v28, -v33
	v_add_f16_e32 v15, v32, v27
	v_fma_f16 v29, v42, v29, -v16
	v_sub_f16_e32 v33, v43, v28
	v_sub_f16_e32 v16, v34, v32
	;; [unrolled: 1-line block ×3, first 2 shown]
	s_waitcnt lgkmcnt(0)
	v_fma_f16 v15, v15, -0.5, v18
	v_sub_f16_e32 v30, v26, v29
	v_add_f16_e32 v16, v16, v35
	v_fma_f16 v35, v33, s2, v15
	v_fma_f16 v15, v33, s3, v15
	;; [unrolled: 1-line block ×6, first 2 shown]
	v_sub_f16_e32 v35, v41, v19
	v_sub_f16_e32 v42, v21, v20
	v_add_f16_e32 v35, v35, v42
	v_add_f16_e32 v42, v19, v20
	v_fma_f16 v42, v42, -0.5, v17
	v_sub_f16_e32 v44, v39, v46
	v_fma_f16 v47, v44, s3, v42
	v_fma_f16 v42, v44, s2, v42
	v_sub_f16_e32 v48, v11, v45
	v_fma_f16 v47, v48, s0, v47
	v_fma_f16 v42, v48, s6, v42
	;; [unrolled: 1-line block ×4, first 2 shown]
	v_sub_f16_e32 v42, v19, v41
	v_sub_f16_e32 v49, v20, v21
	v_add_f16_e32 v42, v42, v49
	v_add_f16_e32 v49, v41, v21
	v_fma_f16 v49, v49, -0.5, v17
	v_fma_f16 v50, v48, s2, v49
	v_fma_f16 v48, v48, s3, v49
	v_fma_f16 v49, v44, s0, v50
	v_fma_f16 v44, v44, s6, v48
	v_fma_f16 v48, v42, s1, v49
	v_fma_f16 v42, v42, s1, v44
	v_add_f16_e32 v44, v17, v41
	v_add_f16_e32 v44, v44, v19
	;; [unrolled: 1-line block ×4, first 2 shown]
	v_sub_f16_e32 v21, v41, v21
	v_sub_f16_e32 v19, v19, v20
	;; [unrolled: 1-line block ×4, first 2 shown]
	v_add_f16_e32 v20, v20, v41
	v_lshrrev_b32_e32 v17, 16, v17
	v_add_f16_e32 v41, v11, v45
	v_fma_f16 v41, v41, -0.5, v17
	v_fma_f16 v49, v21, s2, v41
	v_fma_f16 v41, v21, s3, v41
	;; [unrolled: 1-line block ×6, first 2 shown]
	v_add_f16_e32 v41, v39, v46
	v_fma_f16 v41, v41, -0.5, v17
	v_add_f16_e32 v17, v17, v39
	v_add_f16_e32 v17, v17, v11
	v_sub_f16_e32 v11, v11, v39
	v_sub_f16_e32 v39, v45, v46
	v_add_f16_e32 v11, v11, v39
	v_fma_f16 v39, v19, s3, v41
	v_fma_f16 v19, v19, s2, v41
	;; [unrolled: 1-line block ×6, first 2 shown]
	v_add_f16_e32 v11, v34, v31
	v_add_f16_e32 v17, v17, v45
	v_fma_f16 v11, v11, -0.5, v18
	v_lshrrev_b32_e32 v39, 16, v18
	v_add_f16_e32 v18, v18, v32
	v_sub_f16_e32 v41, v32, v34
	v_sub_f16_e32 v45, v27, v31
	v_add_f16_e32 v41, v41, v45
	v_fma_f16 v45, v30, s3, v11
	v_fma_f16 v11, v30, s2, v11
	v_add_f16_e32 v18, v18, v34
	v_fma_f16 v30, v33, s0, v45
	v_fma_f16 v11, v33, s6, v11
	v_add_f16_e32 v18, v18, v31
	v_add_f16_e32 v33, v43, v28
	;; [unrolled: 1-line block ×3, first 2 shown]
	v_fma_f16 v33, v33, -0.5, v39
	v_sub_f16_e32 v32, v32, v27
	v_sub_f16_e32 v31, v34, v31
	;; [unrolled: 1-line block ×4, first 2 shown]
	v_add_f16_e32 v27, v27, v34
	v_fma_f16 v34, v32, s2, v33
	v_fma_f16 v33, v32, s3, v33
	;; [unrolled: 1-line block ×6, first 2 shown]
	v_add_f16_e32 v33, v26, v29
	v_fma_f16 v33, v33, -0.5, v39
	v_add_f16_e32 v39, v39, v26
	v_add_f16_e32 v39, v39, v43
	;; [unrolled: 1-line block ×3, first 2 shown]
	v_fma_f16 v11, v41, s1, v11
	v_fma_f16 v30, v41, s1, v30
	v_add_f16_e32 v39, v39, v29
	v_sub_f16_e32 v26, v43, v26
	v_fma_f16 v41, v31, s3, v33
	v_sub_f16_e32 v28, v28, v29
	v_fma_f16 v29, v31, s2, v33
	v_add_f16_e32 v17, v17, v46
	v_fma_f16 v41, v32, s6, v41
	v_add_f16_e32 v28, v26, v28
	v_fma_f16 v29, v32, s0, v29
	v_fma_f16 v26, v28, s1, v41
	;; [unrolled: 1-line block ×3, first 2 shown]
	v_pack_b32_f16 v17, v44, v17
	v_pack_b32_f16 v29, v47, v49
	s_waitcnt lgkmcnt(0)
	; wave barrier
	ds_write2_b32 v22, v17, v29 offset1:9
	v_pack_b32_f16 v17, v48, v21
	v_pack_b32_f16 v19, v42, v19
	ds_write2_b32 v22, v17, v19 offset0:18 offset1:27
	v_pack_b32_f16 v17, v35, v20
	ds_write_b32 v22, v17 offset:144
	v_mul_u32_u24_e32 v17, 0xb4, v37
	v_add3_u32 v17, 0, v17, v40
	v_pack_b32_f16 v18, v18, v39
	v_pack_b32_f16 v19, v30, v34
	ds_write2_b32 v17, v18, v19 offset1:9
	v_pack_b32_f16 v18, v15, v26
	v_pack_b32_f16 v19, v16, v28
	ds_write2_b32 v17, v18, v19 offset0:18 offset1:27
	v_pack_b32_f16 v18, v11, v27
	ds_write_b32 v17, v18 offset:144
	s_waitcnt lgkmcnt(0)
	; wave barrier
	s_waitcnt lgkmcnt(0)
	ds_read2_b32 v[17:18], v0 offset1:90
	ds_read2_b32 v[21:22], v25 offset0:52 offset1:142
	ds_read2_b32 v[19:20], v38 offset0:104 offset1:194
	ds_read_b32 v32, v0 offset:2160
	v_cmp_gt_u32_e64 s[0:1], 27, v5
                                        ; implicit-def: $vgpr30
                                        ; implicit-def: $vgpr31
                                        ; implicit-def: $vgpr29
	s_and_saveexec_b64 s[2:3], s[0:1]
	s_cbranch_execz .LBB0_27
; %bb.26:
	ds_read2_b32 v[15:16], v0 offset0:63 offset1:153
	ds_read2_b32 v[11:12], v25 offset0:115 offset1:205
	;; [unrolled: 1-line block ×3, first 2 shown]
	ds_read_u16 v27, v0 offset:974
	ds_read_b32 v31, v0 offset:2412
	s_waitcnt lgkmcnt(4)
	v_lshrrev_b32_e32 v26, 16, v15
	s_waitcnt lgkmcnt(3)
	v_lshrrev_b32_e32 v23, 16, v12
	;; [unrolled: 2-line block ×3, first 2 shown]
	v_lshrrev_b32_e32 v29, 16, v14
	s_waitcnt lgkmcnt(0)
	v_lshrrev_b32_e32 v30, 16, v31
	v_lshrrev_b32_e32 v28, 16, v16
.LBB0_27:
	s_or_b64 exec, exec, s[2:3]
	v_subrev_u32_e32 v25, 45, v5
	v_cmp_gt_u32_e64 s[2:3], 45, v5
	v_cndmask_b32_e64 v25, v25, v5, s[2:3]
	v_mul_i32_i24_e32 v33, 6, v25
	v_mov_b32_e32 v34, 0
	v_lshlrev_b64 v[33:34], 2, v[33:34]
	v_mov_b32_e32 v35, s13
	v_add_co_u32_e64 v37, s[2:3], s12, v33
	v_addc_co_u32_e64 v38, s[2:3], v35, v34, s[2:3]
	global_load_dwordx4 v[33:36], v[37:38], off offset:168
	global_load_dwordx2 v[39:40], v[37:38], off offset:184
	s_waitcnt lgkmcnt(3)
	v_lshrrev_b32_e32 v37, 16, v18
	s_waitcnt lgkmcnt(2)
	v_lshrrev_b32_e32 v38, 16, v21
	;; [unrolled: 2-line block ×4, first 2 shown]
	v_lshrrev_b32_e32 v41, 16, v22
	v_lshrrev_b32_e32 v42, 16, v19
	s_movk_i32 s9, 0x2b26
	s_mov_b32 s6, 0xbb00
	s_mov_b32 s8, 0xbcab
	s_movk_i32 s7, 0x39e0
	s_mov_b32 s15, 0xb9e0
	s_mov_b32 s16, 0xb574
	s_movk_i32 s17, 0x3574
	s_mov_b32 s14, 0xb70e
	v_cmp_lt_u32_e64 s[2:3], 44, v5
	v_lshlrev_b32_e32 v25, 2, v25
	s_waitcnt lgkmcnt(0)
	; wave barrier
	s_waitcnt vmcnt(1)
	v_mul_f16_sdwa v45, v33, v37 dst_sel:DWORD dst_unused:UNUSED_PAD src0_sel:WORD_1 src1_sel:DWORD
	v_mul_f16_sdwa v46, v33, v18 dst_sel:DWORD dst_unused:UNUSED_PAD src0_sel:WORD_1 src1_sel:DWORD
	;; [unrolled: 1-line block ×4, first 2 shown]
	s_waitcnt vmcnt(0)
	v_mul_f16_sdwa v53, v39, v43 dst_sel:DWORD dst_unused:UNUSED_PAD src0_sel:WORD_1 src1_sel:DWORD
	v_mul_f16_sdwa v54, v39, v20 dst_sel:DWORD dst_unused:UNUSED_PAD src0_sel:WORD_1 src1_sel:DWORD
	;; [unrolled: 1-line block ×8, first 2 shown]
	v_fma_f16 v18, v33, v18, v45
	v_fma_f16 v33, v33, v37, -v46
	v_fma_f16 v21, v34, v21, v47
	v_fma_f16 v34, v34, v38, -v48
	;; [unrolled: 2-line block ×6, first 2 shown]
	v_add_f16_e32 v39, v18, v32
	v_add_f16_e32 v40, v33, v38
	v_sub_f16_e32 v18, v18, v32
	v_sub_f16_e32 v32, v33, v38
	v_add_f16_e32 v33, v21, v20
	v_add_f16_e32 v38, v34, v37
	v_sub_f16_e32 v20, v21, v20
	v_sub_f16_e32 v21, v34, v37
	;; [unrolled: 4-line block ×4, first 2 shown]
	v_sub_f16_e32 v39, v39, v34
	v_sub_f16_e32 v40, v40, v37
	;; [unrolled: 1-line block ×4, first 2 shown]
	v_add_f16_e32 v43, v19, v20
	v_sub_f16_e32 v45, v19, v20
	v_sub_f16_e32 v20, v20, v18
	v_add_f16_e32 v34, v34, v35
	v_add_f16_e32 v35, v37, v36
	;; [unrolled: 1-line block ×3, first 2 shown]
	v_sub_f16_e32 v46, v22, v21
	v_sub_f16_e32 v19, v18, v19
	v_add_f16_e32 v18, v43, v18
	v_mul_f16_e32 v36, 0x3a52, v39
	v_mul_f16_e32 v37, 0x3a52, v40
	;; [unrolled: 1-line block ×6, first 2 shown]
	v_add_f16_e32 v47, v34, v17
	v_add_f16_sdwa v17, v35, v17 dst_sel:DWORD dst_unused:UNUSED_PAD src0_sel:DWORD src1_sel:WORD_1
	v_sub_f16_e32 v22, v32, v22
	v_sub_f16_e32 v21, v21, v32
	v_add_f16_e32 v32, v44, v32
	v_mul_f16_e32 v44, 0x3846, v46
	v_fma_f16 v33, v33, s9, v36
	v_fma_f16 v38, v38, s9, v37
	;; [unrolled: 1-line block ×4, first 2 shown]
	v_fma_f16 v39, v41, s7, -v39
	v_fma_f16 v40, v42, s7, -v40
	;; [unrolled: 1-line block ×4, first 2 shown]
	v_fma_f16 v41, v19, s16, v43
	v_fma_f16 v20, v20, s6, -v43
	v_fma_f16 v19, v19, s17, -v45
	v_mul_f16_e32 v46, 0xbb00, v21
	v_fma_f16 v42, v22, s16, v44
	v_add_f16_e32 v33, v33, v34
	v_add_f16_e32 v38, v38, v35
	;; [unrolled: 1-line block ×6, first 2 shown]
	v_fma_f16 v36, v18, s14, v41
	v_fma_f16 v20, v18, s14, v20
	;; [unrolled: 1-line block ×3, first 2 shown]
	v_fma_f16 v21, v21, s6, -v44
	v_fma_f16 v22, v22, s17, -v46
	v_fma_f16 v37, v32, s14, v42
	v_sub_f16_e32 v42, v35, v18
	v_add_f16_e32 v18, v18, v35
	v_mov_b32_e32 v35, 0x4ec
	v_fma_f16 v21, v32, s14, v21
	v_fma_f16 v19, v32, s14, v22
	v_add_f16_e32 v22, v37, v33
	v_sub_f16_e32 v32, v38, v36
	v_cndmask_b32_e64 v35, 0, v35, s[2:3]
	v_add_f16_e32 v41, v19, v34
	v_sub_f16_e32 v43, v39, v21
	v_add_f16_e32 v44, v20, v40
	v_add3_u32 v25, 0, v35, v25
	v_pack_b32_f16 v17, v47, v17
	v_pack_b32_f16 v22, v22, v32
	v_add_f16_e32 v21, v21, v39
	v_sub_f16_e32 v20, v40, v20
	v_sub_f16_e32 v19, v34, v19
	ds_write2_b32 v25, v17, v22 offset1:45
	v_pack_b32_f16 v17, v41, v42
	v_pack_b32_f16 v22, v43, v44
	v_sub_f16_e32 v33, v33, v37
	v_add_f16_e32 v34, v36, v38
	ds_write2_b32 v25, v17, v22 offset0:90 offset1:135
	v_pack_b32_f16 v17, v21, v20
	v_pack_b32_f16 v18, v19, v18
	ds_write2_b32 v25, v17, v18 offset0:180 offset1:225
	v_pack_b32_f16 v17, v33, v34
	ds_write_b32 v25, v17 offset:1080
	s_and_saveexec_b64 s[2:3], s[0:1]
	s_cbranch_execz .LBB0_29
; %bb.28:
	s_movk_i32 s0, 0x6d
	v_mul_lo_u16_sdwa v17, v6, s0 dst_sel:DWORD dst_unused:UNUSED_PAD src0_sel:BYTE_0 src1_sel:DWORD
	v_sub_u16_sdwa v18, v6, v17 dst_sel:DWORD dst_unused:UNUSED_PAD src0_sel:DWORD src1_sel:BYTE_1
	v_lshrrev_b16_e32 v18, 1, v18
	v_and_b32_e32 v18, 0x7f, v18
	v_add_u16_sdwa v17, v18, v17 dst_sel:DWORD dst_unused:UNUSED_PAD src0_sel:DWORD src1_sel:BYTE_1
	v_lshrrev_b16_e32 v17, 5, v17
	v_mul_lo_u16_e32 v17, 45, v17
	v_sub_u16_e32 v6, v6, v17
	v_and_b32_e32 v6, 0xff, v6
	v_mul_u32_u24_e32 v17, 6, v6
	v_lshlrev_b32_e32 v25, 2, v17
	global_load_dwordx4 v[17:20], v25, s[12:13] offset:168
	global_load_dwordx2 v[21:22], v25, s[12:13] offset:184
	v_lshl_add_u32 v6, v6, 2, 0
	s_waitcnt vmcnt(1)
	v_mul_f16_sdwa v25, v28, v17 dst_sel:DWORD dst_unused:UNUSED_PAD src0_sel:DWORD src1_sel:WORD_1
	s_waitcnt vmcnt(0)
	v_mul_f16_sdwa v32, v30, v22 dst_sel:DWORD dst_unused:UNUSED_PAD src0_sel:DWORD src1_sel:WORD_1
	v_mul_f16_sdwa v33, v24, v20 dst_sel:DWORD dst_unused:UNUSED_PAD src0_sel:DWORD src1_sel:WORD_1
	;; [unrolled: 1-line block ×11, first 2 shown]
	v_fma_f16 v16, v16, v17, v25
	v_fma_f16 v25, v31, v22, v32
	v_fma_f16 v13, v13, v20, v33
	v_fma_f16 v12, v12, v19, v34
	v_fma_f16 v11, v11, v18, v35
	v_fma_f16 v14, v14, v21, v36
	v_fma_f16 v22, v30, v22, -v37
	v_fma_f16 v17, v28, v17, -v38
	;; [unrolled: 1-line block ×6, first 2 shown]
	v_sub_f16_e32 v23, v16, v25
	v_sub_f16_e32 v24, v13, v12
	;; [unrolled: 1-line block ×3, first 2 shown]
	v_add_f16_e32 v28, v17, v22
	v_add_f16_e32 v30, v18, v21
	;; [unrolled: 1-line block ×6, first 2 shown]
	v_sub_f16_e32 v13, v17, v22
	v_sub_f16_e32 v14, v20, v19
	;; [unrolled: 1-line block ×5, first 2 shown]
	v_add_f16_e32 v20, v24, v27
	v_add_f16_e32 v24, v30, v28
	;; [unrolled: 1-line block ×3, first 2 shown]
	v_sub_f16_e32 v21, v28, v29
	v_sub_f16_e32 v22, v29, v30
	;; [unrolled: 1-line block ×6, first 2 shown]
	v_add_f16_e32 v14, v14, v17
	v_sub_f16_e32 v27, v27, v23
	v_sub_f16_e32 v11, v11, v16
	;; [unrolled: 1-line block ×3, first 2 shown]
	v_mul_f16_e32 v17, 0x3846, v19
	v_add_f16_e32 v19, v20, v23
	v_add_f16_e32 v23, v29, v24
	;; [unrolled: 1-line block ×3, first 2 shown]
	v_sub_f16_e32 v28, v30, v28
	v_mul_f16_e32 v20, 0x3a52, v21
	v_mul_f16_e32 v21, 0x2b26, v22
	v_mul_f16_e32 v24, 0x3a52, v25
	v_mul_f16_e32 v25, 0x2b26, v31
	v_mul_f16_e32 v29, 0x3846, v34
	v_add_f16_e32 v13, v14, v13
	v_mul_f16_e32 v14, 0xbb00, v27
	v_mul_f16_e32 v30, 0xbb00, v16
	v_add_f16_e32 v26, v26, v23
	v_add_f16_e32 v15, v15, v12
	v_fma_f16 v32, v18, s16, v17
	v_fma_f16 v22, v22, s9, v20
	;; [unrolled: 1-line block ×4, first 2 shown]
	v_fma_f16 v14, v18, s17, -v14
	v_fma_f16 v18, v28, s15, -v20
	v_fma_f16 v20, v11, s15, -v24
	v_fma_f16 v24, v33, s17, -v30
	v_fma_f16 v23, v23, s8, v26
	v_fma_f16 v12, v12, s8, v15
	v_fma_f16 v21, v28, s7, -v21
	v_fma_f16 v17, v27, s6, -v17
	v_fma_f16 v16, v16, s6, -v29
	v_fma_f16 v11, v11, s7, -v25
	v_fma_f16 v30, v19, s14, v32
	v_fma_f16 v32, v13, s14, v34
	;; [unrolled: 1-line block ×4, first 2 shown]
	v_add_f16_e32 v22, v22, v23
	v_add_f16_e32 v31, v31, v12
	;; [unrolled: 1-line block ×5, first 2 shown]
	v_fma_f16 v17, v19, s14, v17
	v_fma_f16 v13, v13, s14, v16
	v_add_f16_e32 v11, v11, v12
	v_add_f16_e32 v35, v14, v18
	v_sub_f16_e32 v19, v21, v17
	v_add_f16_e32 v12, v13, v11
	v_add_f16_e32 v16, v17, v21
	v_sub_f16_e32 v11, v11, v13
	v_sub_f16_e32 v13, v18, v14
	v_add_f16_e32 v14, v24, v20
	v_sub_f16_e32 v17, v22, v30
	v_add_f16_e32 v18, v32, v31
	v_sub_f16_e32 v36, v20, v24
	v_pack_b32_f16 v17, v18, v17
	v_add_u32_e32 v18, 0x400, v6
	v_pack_b32_f16 v13, v14, v13
	v_pack_b32_f16 v11, v11, v16
	v_add_f16_e32 v33, v30, v22
	v_sub_f16_e32 v34, v31, v32
	ds_write2_b32 v18, v13, v11 offset0:149 offset1:194
	v_pack_b32_f16 v11, v12, v19
	v_pack_b32_f16 v12, v36, v35
	v_add_u32_e32 v13, 0x600, v6
	v_pack_b32_f16 v15, v15, v26
	ds_write2_b32 v13, v11, v12 offset0:111 offset1:156
	v_pack_b32_f16 v11, v34, v33
	ds_write2_b32 v18, v15, v17 offset0:59 offset1:104
	ds_write_b32 v6, v11 offset:2340
.LBB0_29:
	s_or_b64 exec, exec, s[2:3]
	v_mov_b32_e32 v11, s13
	v_add_co_u32_e64 v6, s[0:1], s12, v7
	v_addc_co_u32_e64 v7, s[0:1], v11, v8, s[0:1]
	v_add_co_u32_e64 v8, s[0:1], s12, v9
	s_waitcnt lgkmcnt(0)
	; wave barrier
	s_waitcnt lgkmcnt(0)
	v_addc_co_u32_e64 v9, s[0:1], v11, v10, s[0:1]
	global_load_dword v16, v[6:7], off offset:1248
	global_load_dword v17, v[8:9], off offset:1500
	;; [unrolled: 1-line block ×5, first 2 shown]
	v_add_u32_e32 v21, 0x200, v0
	ds_read2_b32 v[6:7], v0 offset1:63
	v_add_u32_e32 v22, 0x400, v0
	ds_read2_b32 v[8:9], v0 offset0:126 offset1:189
	v_add_u32_e32 v23, 0x600, v0
	ds_read2_b32 v[10:11], v21 offset0:124 offset1:187
	ds_read2_b32 v[12:13], v22 offset0:122 offset1:185
	;; [unrolled: 1-line block ×3, first 2 shown]
	s_mov_b32 s0, 0xffff
	s_waitcnt lgkmcnt(0)
	; wave barrier
	s_waitcnt vmcnt(4) lgkmcnt(0)
	v_pk_mul_f16 v24, v16, v11 op_sel:[0,1]
	s_waitcnt vmcnt(3)
	v_pk_mul_f16 v25, v17, v12 op_sel:[0,1]
	s_waitcnt vmcnt(2)
	;; [unrolled: 2-line block ×4, first 2 shown]
	v_pk_mul_f16 v28, v20, v15 op_sel:[0,1]
	v_pk_fma_f16 v29, v16, v11, v24 op_sel:[0,0,1] op_sel_hi:[1,1,0]
	v_pk_fma_f16 v11, v16, v11, v24 op_sel:[0,0,1] op_sel_hi:[1,0,0] neg_lo:[1,0,0] neg_hi:[1,0,0]
	v_pk_fma_f16 v16, v17, v12, v25 op_sel:[0,0,1] op_sel_hi:[1,1,0]
	v_pk_fma_f16 v12, v17, v12, v25 op_sel:[0,0,1] op_sel_hi:[1,0,0] neg_lo:[1,0,0] neg_hi:[1,0,0]
	;; [unrolled: 2-line block ×5, first 2 shown]
	v_bfi_b32 v11, s0, v29, v11
	v_bfi_b32 v12, s0, v16, v12
	;; [unrolled: 1-line block ×5, first 2 shown]
	v_pk_add_f16 v11, v6, v11 neg_lo:[0,1] neg_hi:[0,1]
	v_pk_add_f16 v12, v7, v12 neg_lo:[0,1] neg_hi:[0,1]
	;; [unrolled: 1-line block ×5, first 2 shown]
	v_pk_fma_f16 v6, v6, 2.0, v11 op_sel_hi:[1,0,1] neg_lo:[0,0,1] neg_hi:[0,0,1]
	v_pk_fma_f16 v7, v7, 2.0, v12 op_sel_hi:[1,0,1] neg_lo:[0,0,1] neg_hi:[0,0,1]
	;; [unrolled: 1-line block ×5, first 2 shown]
	ds_write2_b32 v22, v12, v13 offset0:122 offset1:185
	ds_write2_b32 v23, v14, v15 offset0:120 offset1:183
	ds_write2_b32 v0, v6, v7 offset1:63
	ds_write2_b32 v0, v8, v9 offset0:126 offset1:189
	ds_write2_b32 v21, v10, v11 offset0:124 offset1:187
	s_waitcnt lgkmcnt(0)
	; wave barrier
	s_waitcnt lgkmcnt(0)
	s_and_saveexec_b64 s[0:1], vcc
	s_cbranch_execz .LBB0_31
; %bb.30:
	v_mul_lo_u32 v0, s5, v3
	v_mul_lo_u32 v6, s4, v4
	v_mad_u64_u32 v[3:4], s[0:1], s4, v3, 0
	v_lshl_add_u32 v9, v5, 2, 0
	ds_read2_b32 v[7:8], v9 offset1:63
	v_add3_u32 v4, v4, v6, v0
	v_lshlrev_b64 v[3:4], 2, v[3:4]
	v_mov_b32_e32 v0, s11
	v_add_co_u32_e32 v3, vcc, s10, v3
	v_addc_co_u32_e32 v4, vcc, v0, v4, vcc
	v_lshlrev_b64 v[0:1], 2, v[1:2]
	v_mov_b32_e32 v6, 0
	v_add_co_u32_e32 v10, vcc, v3, v0
	v_addc_co_u32_e32 v4, vcc, v4, v1, vcc
	v_lshlrev_b64 v[0:1], 2, v[5:6]
	ds_read2_b32 v[2:3], v9 offset0:126 offset1:189
	v_add_co_u32_e32 v0, vcc, v10, v0
	v_addc_co_u32_e32 v1, vcc, v4, v1, vcc
	s_waitcnt lgkmcnt(1)
	global_store_dword v[0:1], v7, off
	v_add_u32_e32 v0, 63, v5
	v_mov_b32_e32 v1, v6
	v_lshlrev_b64 v[0:1], 2, v[0:1]
	v_add_co_u32_e32 v0, vcc, v10, v0
	v_addc_co_u32_e32 v1, vcc, v4, v1, vcc
	global_store_dword v[0:1], v8, off
	v_add_u32_e32 v0, 0x7e, v5
	v_mov_b32_e32 v1, v6
	v_lshlrev_b64 v[0:1], 2, v[0:1]
	v_add_co_u32_e32 v0, vcc, v10, v0
	v_addc_co_u32_e32 v1, vcc, v4, v1, vcc
	s_waitcnt lgkmcnt(0)
	global_store_dword v[0:1], v2, off
	v_add_u32_e32 v0, 0xbd, v5
	v_mov_b32_e32 v1, v6
	v_lshlrev_b64 v[0:1], 2, v[0:1]
	v_add_u32_e32 v2, 0x200, v9
	v_add_co_u32_e32 v0, vcc, v10, v0
	v_addc_co_u32_e32 v1, vcc, v4, v1, vcc
	global_store_dword v[0:1], v3, off
	v_add_u32_e32 v0, 0xfc, v5
	v_mov_b32_e32 v1, v6
	ds_read2_b32 v[2:3], v2 offset0:124 offset1:187
	v_lshlrev_b64 v[0:1], 2, v[0:1]
	v_add_co_u32_e32 v0, vcc, v10, v0
	v_addc_co_u32_e32 v1, vcc, v4, v1, vcc
	s_waitcnt lgkmcnt(0)
	global_store_dword v[0:1], v2, off
	v_add_u32_e32 v0, 0x13b, v5
	v_mov_b32_e32 v1, v6
	v_lshlrev_b64 v[0:1], 2, v[0:1]
	v_add_u32_e32 v2, 0x400, v9
	v_add_co_u32_e32 v0, vcc, v10, v0
	v_addc_co_u32_e32 v1, vcc, v4, v1, vcc
	global_store_dword v[0:1], v3, off
	v_add_u32_e32 v0, 0x17a, v5
	v_mov_b32_e32 v1, v6
	ds_read2_b32 v[2:3], v2 offset0:122 offset1:185
	;; [unrolled: 15-line block ×3, first 2 shown]
	v_lshlrev_b64 v[0:1], 2, v[0:1]
	v_add_u32_e32 v5, 0x237, v5
	v_add_co_u32_e32 v0, vcc, v10, v0
	v_addc_co_u32_e32 v1, vcc, v4, v1, vcc
	s_waitcnt lgkmcnt(0)
	global_store_dword v[0:1], v2, off
	v_lshlrev_b64 v[0:1], 2, v[5:6]
	v_add_co_u32_e32 v0, vcc, v10, v0
	v_addc_co_u32_e32 v1, vcc, v4, v1, vcc
	global_store_dword v[0:1], v3, off
.LBB0_31:
	s_endpgm
	.section	.rodata,"a",@progbits
	.p2align	6, 0x0
	.amdhsa_kernel fft_rtc_back_len630_factors_3_3_5_7_2_wgs_63_tpt_63_halfLds_half_op_CI_CI_unitstride_sbrr_C2R_dirReg
		.amdhsa_group_segment_fixed_size 0
		.amdhsa_private_segment_fixed_size 0
		.amdhsa_kernarg_size 104
		.amdhsa_user_sgpr_count 6
		.amdhsa_user_sgpr_private_segment_buffer 1
		.amdhsa_user_sgpr_dispatch_ptr 0
		.amdhsa_user_sgpr_queue_ptr 0
		.amdhsa_user_sgpr_kernarg_segment_ptr 1
		.amdhsa_user_sgpr_dispatch_id 0
		.amdhsa_user_sgpr_flat_scratch_init 0
		.amdhsa_user_sgpr_private_segment_size 0
		.amdhsa_uses_dynamic_stack 0
		.amdhsa_system_sgpr_private_segment_wavefront_offset 0
		.amdhsa_system_sgpr_workgroup_id_x 1
		.amdhsa_system_sgpr_workgroup_id_y 0
		.amdhsa_system_sgpr_workgroup_id_z 0
		.amdhsa_system_sgpr_workgroup_info 0
		.amdhsa_system_vgpr_workitem_id 0
		.amdhsa_next_free_vgpr 57
		.amdhsa_next_free_sgpr 28
		.amdhsa_reserve_vcc 1
		.amdhsa_reserve_flat_scratch 0
		.amdhsa_float_round_mode_32 0
		.amdhsa_float_round_mode_16_64 0
		.amdhsa_float_denorm_mode_32 3
		.amdhsa_float_denorm_mode_16_64 3
		.amdhsa_dx10_clamp 1
		.amdhsa_ieee_mode 1
		.amdhsa_fp16_overflow 0
		.amdhsa_exception_fp_ieee_invalid_op 0
		.amdhsa_exception_fp_denorm_src 0
		.amdhsa_exception_fp_ieee_div_zero 0
		.amdhsa_exception_fp_ieee_overflow 0
		.amdhsa_exception_fp_ieee_underflow 0
		.amdhsa_exception_fp_ieee_inexact 0
		.amdhsa_exception_int_div_zero 0
	.end_amdhsa_kernel
	.text
.Lfunc_end0:
	.size	fft_rtc_back_len630_factors_3_3_5_7_2_wgs_63_tpt_63_halfLds_half_op_CI_CI_unitstride_sbrr_C2R_dirReg, .Lfunc_end0-fft_rtc_back_len630_factors_3_3_5_7_2_wgs_63_tpt_63_halfLds_half_op_CI_CI_unitstride_sbrr_C2R_dirReg
                                        ; -- End function
	.section	.AMDGPU.csdata,"",@progbits
; Kernel info:
; codeLenInByte = 8504
; NumSgprs: 32
; NumVgprs: 57
; ScratchSize: 0
; MemoryBound: 0
; FloatMode: 240
; IeeeMode: 1
; LDSByteSize: 0 bytes/workgroup (compile time only)
; SGPRBlocks: 3
; VGPRBlocks: 14
; NumSGPRsForWavesPerEU: 32
; NumVGPRsForWavesPerEU: 57
; Occupancy: 4
; WaveLimiterHint : 1
; COMPUTE_PGM_RSRC2:SCRATCH_EN: 0
; COMPUTE_PGM_RSRC2:USER_SGPR: 6
; COMPUTE_PGM_RSRC2:TRAP_HANDLER: 0
; COMPUTE_PGM_RSRC2:TGID_X_EN: 1
; COMPUTE_PGM_RSRC2:TGID_Y_EN: 0
; COMPUTE_PGM_RSRC2:TGID_Z_EN: 0
; COMPUTE_PGM_RSRC2:TIDIG_COMP_CNT: 0
	.type	__hip_cuid_2d6949f05d05c048,@object ; @__hip_cuid_2d6949f05d05c048
	.section	.bss,"aw",@nobits
	.globl	__hip_cuid_2d6949f05d05c048
__hip_cuid_2d6949f05d05c048:
	.byte	0                               ; 0x0
	.size	__hip_cuid_2d6949f05d05c048, 1

	.ident	"AMD clang version 19.0.0git (https://github.com/RadeonOpenCompute/llvm-project roc-6.4.0 25133 c7fe45cf4b819c5991fe208aaa96edf142730f1d)"
	.section	".note.GNU-stack","",@progbits
	.addrsig
	.addrsig_sym __hip_cuid_2d6949f05d05c048
	.amdgpu_metadata
---
amdhsa.kernels:
  - .args:
      - .actual_access:  read_only
        .address_space:  global
        .offset:         0
        .size:           8
        .value_kind:     global_buffer
      - .offset:         8
        .size:           8
        .value_kind:     by_value
      - .actual_access:  read_only
        .address_space:  global
        .offset:         16
        .size:           8
        .value_kind:     global_buffer
      - .actual_access:  read_only
        .address_space:  global
        .offset:         24
        .size:           8
        .value_kind:     global_buffer
      - .actual_access:  read_only
        .address_space:  global
        .offset:         32
        .size:           8
        .value_kind:     global_buffer
      - .offset:         40
        .size:           8
        .value_kind:     by_value
      - .actual_access:  read_only
        .address_space:  global
        .offset:         48
        .size:           8
        .value_kind:     global_buffer
      - .actual_access:  read_only
        .address_space:  global
        .offset:         56
        .size:           8
        .value_kind:     global_buffer
      - .offset:         64
        .size:           4
        .value_kind:     by_value
      - .actual_access:  read_only
        .address_space:  global
        .offset:         72
        .size:           8
        .value_kind:     global_buffer
      - .actual_access:  read_only
        .address_space:  global
        .offset:         80
        .size:           8
        .value_kind:     global_buffer
      - .actual_access:  read_only
        .address_space:  global
        .offset:         88
        .size:           8
        .value_kind:     global_buffer
      - .actual_access:  write_only
        .address_space:  global
        .offset:         96
        .size:           8
        .value_kind:     global_buffer
    .group_segment_fixed_size: 0
    .kernarg_segment_align: 8
    .kernarg_segment_size: 104
    .language:       OpenCL C
    .language_version:
      - 2
      - 0
    .max_flat_workgroup_size: 63
    .name:           fft_rtc_back_len630_factors_3_3_5_7_2_wgs_63_tpt_63_halfLds_half_op_CI_CI_unitstride_sbrr_C2R_dirReg
    .private_segment_fixed_size: 0
    .sgpr_count:     32
    .sgpr_spill_count: 0
    .symbol:         fft_rtc_back_len630_factors_3_3_5_7_2_wgs_63_tpt_63_halfLds_half_op_CI_CI_unitstride_sbrr_C2R_dirReg.kd
    .uniform_work_group_size: 1
    .uses_dynamic_stack: false
    .vgpr_count:     57
    .vgpr_spill_count: 0
    .wavefront_size: 64
amdhsa.target:   amdgcn-amd-amdhsa--gfx906
amdhsa.version:
  - 1
  - 2
...

	.end_amdgpu_metadata
